;; amdgpu-corpus repo=ROCm/rocFFT kind=compiled arch=gfx1030 opt=O3
	.text
	.amdgcn_target "amdgcn-amd-amdhsa--gfx1030"
	.amdhsa_code_object_version 6
	.protected	bluestein_single_back_len104_dim1_sp_op_CI_CI ; -- Begin function bluestein_single_back_len104_dim1_sp_op_CI_CI
	.globl	bluestein_single_back_len104_dim1_sp_op_CI_CI
	.p2align	8
	.type	bluestein_single_back_len104_dim1_sp_op_CI_CI,@function
bluestein_single_back_len104_dim1_sp_op_CI_CI: ; @bluestein_single_back_len104_dim1_sp_op_CI_CI
; %bb.0:
	s_load_dwordx4 s[16:19], s[4:5], 0x28
	v_lshrrev_b32_e32 v1, 3, v0
	v_mov_b32_e32 v80, 0
	s_mov_b32 s0, exec_lo
	v_lshl_or_b32 v52, s6, 3, v1
	v_mov_b32_e32 v53, v80
	s_waitcnt lgkmcnt(0)
	v_cmpx_gt_u64_e64 s[16:17], v[52:53]
	s_cbranch_execz .LBB0_10
; %bb.1:
	s_clause 0x1
	s_load_dwordx4 s[0:3], s[4:5], 0x18
	s_load_dwordx4 s[12:15], s[4:5], 0x0
	v_and_b32_e32 v89, 7, v0
	v_mul_u32_u24_e32 v93, 0x68, v1
	v_lshlrev_b32_e32 v92, 3, v89
	v_lshl_or_b32 v90, v93, 3, v92
	s_waitcnt lgkmcnt(0)
	s_load_dwordx4 s[8:11], s[0:1], 0x0
	s_clause 0xa
	global_load_dwordx2 v[53:54], v92, s[12:13]
	global_load_dwordx2 v[57:58], v92, s[12:13] offset:64
	global_load_dwordx2 v[67:68], v92, s[12:13] offset:128
	;; [unrolled: 1-line block ×10, first 2 shown]
	s_waitcnt lgkmcnt(0)
	v_mad_u64_u32 v[2:3], null, s10, v52, 0
	v_mad_u64_u32 v[4:5], null, s8, v89, 0
	s_lshl_b64 s[0:1], s[8:9], 6
	v_mov_b32_e32 v0, v3
	v_mov_b32_e32 v3, v5
	v_mad_u64_u32 v[5:6], null, s11, v52, v[0:1]
	v_mad_u64_u32 v[6:7], null, s9, v89, v[3:4]
	v_or_b32_e32 v1, v93, v89
	v_mov_b32_e32 v3, v5
	v_lshlrev_b32_e32 v91, 3, v1
	v_mov_b32_e32 v5, v6
	v_lshlrev_b64 v[2:3], 3, v[2:3]
	v_lshlrev_b64 v[4:5], 3, v[4:5]
	v_add_co_u32 v0, vcc_lo, s18, v2
	v_add_co_ci_u32_e32 v3, vcc_lo, s19, v3, vcc_lo
	v_add_co_u32 v2, vcc_lo, v0, v4
	v_add_co_ci_u32_e32 v3, vcc_lo, v3, v5, vcc_lo
	;; [unrolled: 2-line block ×3, first 2 shown]
	global_load_dwordx2 v[2:3], v[2:3], off
	v_add_co_u32 v6, vcc_lo, v4, s0
	v_add_co_ci_u32_e32 v7, vcc_lo, s1, v5, vcc_lo
	v_add_co_u32 v8, vcc_lo, v6, s0
	v_add_co_ci_u32_e32 v9, vcc_lo, s1, v7, vcc_lo
	s_clause 0x1
	global_load_dwordx2 v[4:5], v[4:5], off
	global_load_dwordx2 v[6:7], v[6:7], off
	v_add_co_u32 v10, vcc_lo, v8, s0
	v_add_co_ci_u32_e32 v11, vcc_lo, s1, v9, vcc_lo
	v_add_co_u32 v12, vcc_lo, v10, s0
	v_add_co_ci_u32_e32 v13, vcc_lo, s1, v11, vcc_lo
	s_clause 0x1
	global_load_dwordx2 v[8:9], v[8:9], off
	global_load_dwordx2 v[10:11], v[10:11], off
	v_add_co_u32 v14, vcc_lo, v12, s0
	v_add_co_ci_u32_e32 v15, vcc_lo, s1, v13, vcc_lo
	global_load_dwordx2 v[12:13], v[12:13], off
	v_add_co_u32 v16, vcc_lo, v14, s0
	v_add_co_ci_u32_e32 v17, vcc_lo, s1, v15, vcc_lo
	;; [unrolled: 3-line block ×7, first 2 shown]
	global_load_dwordx2 v[75:76], v92, s[12:13] offset:704
	global_load_dwordx2 v[24:25], v[24:25], off
	global_load_dwordx2 v[77:78], v92, s[12:13] offset:768
	global_load_dwordx2 v[26:27], v[26:27], off
	s_load_dwordx4 s[8:11], s[2:3], 0x0
	s_load_dwordx2 s[2:3], s[4:5], 0x38
	s_waitcnt vmcnt(14)
	v_mul_f32_e32 v0, v3, v54
	v_mul_f32_e32 v1, v2, v54
	v_fmac_f32_e32 v0, v2, v53
	v_fma_f32 v1, v3, v53, -v1
	s_waitcnt vmcnt(13)
	v_mul_f32_e32 v2, v5, v58
	v_mul_f32_e32 v29, v4, v58
	s_waitcnt vmcnt(12)
	v_mul_f32_e32 v28, v7, v68
	v_mul_f32_e32 v30, v6, v68
	ds_write_b64 v91, v[0:1]
	v_fmac_f32_e32 v2, v4, v57
	v_fma_f32 v3, v5, v57, -v29
	v_fmac_f32_e32 v28, v6, v67
	v_fma_f32 v29, v7, v67, -v30
	s_waitcnt vmcnt(11)
	v_mul_f32_e32 v0, v9, v56
	v_mul_f32_e32 v1, v8, v56
	ds_write2_b64 v90, v[2:3], v[28:29] offset0:8 offset1:16
	s_waitcnt vmcnt(10)
	v_mul_f32_e32 v2, v11, v66
	v_mul_f32_e32 v3, v10, v66
	s_waitcnt vmcnt(9)
	v_mul_f32_e32 v4, v13, v74
	v_mul_f32_e32 v5, v12, v74
	v_fmac_f32_e32 v0, v8, v55
	v_fma_f32 v1, v9, v55, -v1
	v_fmac_f32_e32 v2, v10, v65
	s_waitcnt vmcnt(8)
	v_mul_f32_e32 v6, v15, v64
	v_mul_f32_e32 v7, v14, v64
	v_fma_f32 v3, v11, v65, -v3
	v_fmac_f32_e32 v4, v12, v73
	v_fma_f32 v5, v13, v73, -v5
	s_waitcnt vmcnt(7)
	v_mul_f32_e32 v8, v17, v60
	v_mul_f32_e32 v9, v16, v60
	v_fmac_f32_e32 v6, v14, v63
	v_fma_f32 v7, v15, v63, -v7
	s_waitcnt vmcnt(6)
	v_mul_f32_e32 v10, v19, v62
	v_mul_f32_e32 v11, v18, v62
	;; [unrolled: 5-line block ×4, first 2 shown]
	v_fmac_f32_e32 v12, v20, v71
	s_waitcnt vmcnt(2)
	v_mul_f32_e32 v16, v25, v76
	v_mul_f32_e32 v17, v24, v76
	s_waitcnt vmcnt(0)
	v_mul_f32_e32 v18, v27, v78
	v_mul_f32_e32 v19, v26, v78
	v_fma_f32 v13, v21, v71, -v13
	v_fmac_f32_e32 v14, v22, v69
	v_fma_f32 v15, v23, v69, -v15
	v_fmac_f32_e32 v16, v24, v75
	;; [unrolled: 2-line block ×3, first 2 shown]
	v_fma_f32 v19, v27, v77, -v19
	ds_write2_b64 v90, v[0:1], v[2:3] offset0:24 offset1:32
	ds_write2_b64 v90, v[4:5], v[6:7] offset0:40 offset1:48
	;; [unrolled: 1-line block ×5, first 2 shown]
	s_waitcnt lgkmcnt(0)
	s_barrier
	buffer_gl0_inv
	ds_read_b64 v[24:25], v91
	ds_read2_b64 v[20:23], v90 offset0:8 offset1:16
	ds_read2_b64 v[0:3], v90 offset0:88 offset1:96
	;; [unrolled: 1-line block ×6, first 2 shown]
	s_waitcnt lgkmcnt(0)
	s_barrier
	buffer_gl0_inv
	v_add_f32_e32 v26, v24, v20
	v_add_f32_e32 v27, v25, v21
	;; [unrolled: 1-line block ×3, first 2 shown]
	v_sub_f32_e32 v21, v21, v3
	v_add_f32_e32 v30, v0, v22
	v_sub_f32_e32 v32, v22, v0
	v_add_f32_e32 v22, v26, v22
	v_add_f32_e32 v28, v2, v20
	v_sub_f32_e32 v20, v20, v2
	v_add_f32_e32 v31, v1, v23
	v_sub_f32_e32 v33, v23, v1
	;; [unrolled: 2-line block ×3, first 2 shown]
	v_add_f32_e32 v23, v27, v23
	v_mul_f32_e32 v26, 0xbeedf032, v21
	v_add_f32_e32 v16, v22, v16
	v_add_f32_e32 v35, v7, v17
	v_sub_f32_e32 v37, v17, v7
	v_mul_f32_e32 v27, 0xbeedf032, v20
	v_mul_f32_e32 v50, 0xbf52af12, v21
	;; [unrolled: 1-line block ×12, first 2 shown]
	v_add_f32_e32 v17, v23, v17
	v_fma_f32 v22, 0x3f62ad3f, v28, -v26
	v_add_f32_e32 v16, v16, v18
	v_add_f32_e32 v38, v4, v18
	v_sub_f32_e32 v40, v18, v4
	v_sub_f32_e32 v41, v19, v5
	v_add_f32_e32 v42, v10, v12
	v_sub_f32_e32 v44, v12, v10
	v_mul_f32_e32 v87, 0xbf6f5d39, v33
	v_mul_f32_e32 v88, 0xbe750f2a, v33
	;; [unrolled: 1-line block ×12, first 2 shown]
	v_fmamk_f32 v23, v29, 0x3f62ad3f, v27
	v_fmac_f32_e32 v26, 0x3f62ad3f, v28
	v_fma_f32 v27, 0x3f62ad3f, v29, -v27
	v_fma_f32 v137, 0x3f116cb1, v28, -v50
	v_fmamk_f32 v138, v29, 0x3f116cb1, v51
	v_fmac_f32_e32 v50, 0x3f116cb1, v28
	v_fma_f32 v51, 0x3f116cb1, v29, -v51
	v_fma_f32 v139, 0x3df6dbef, v28, -v79
	;; [unrolled: 4-line block ×5, first 2 shown]
	v_fmac_f32_e32 v21, 0xbf788fa5, v28
	v_fmamk_f32 v28, v29, 0xbf788fa5, v20
	v_fma_f32 v20, 0xbf788fa5, v29, -v20
	v_fma_f32 v29, 0x3f116cb1, v30, -v86
	v_add_f32_e32 v17, v17, v19
	v_add_f32_e32 v18, v24, v22
	;; [unrolled: 1-line block ×5, first 2 shown]
	v_sub_f32_e32 v45, v13, v11
	v_mul_f32_e32 v102, 0xbe750f2a, v37
	v_mul_f32_e32 v103, 0x3f6f5d39, v37
	v_mul_f32_e32 v104, 0x3eedf032, v37
	v_mul_f32_e32 v105, 0xbf52af12, v37
	v_mul_f32_e32 v37, 0xbf29c268, v37
	v_mul_f32_e32 v106, 0xbf7e222b, v36
	v_mul_f32_e32 v107, 0xbe750f2a, v36
	v_mul_f32_e32 v108, 0x3f6f5d39, v36
	v_mul_f32_e32 v109, 0x3eedf032, v36
	v_mul_f32_e32 v110, 0xbf52af12, v36
	v_mul_f32_e32 v36, 0xbf29c268, v36
	v_mul_f32_e32 v111, 0xbf6f5d39, v41
	v_fmac_f32_e32 v86, 0x3f116cb1, v30
	v_fma_f32 v146, 0xbeb58ec6, v30, -v87
	v_fmac_f32_e32 v87, 0xbeb58ec6, v30
	v_fma_f32 v147, 0xbf788fa5, v30, -v88
	;; [unrolled: 2-line block ×5, first 2 shown]
	v_fmac_f32_e32 v33, 0x3f62ad3f, v30
	v_fmamk_f32 v30, v31, 0x3f116cb1, v96
	v_fma_f32 v96, 0x3f116cb1, v31, -v96
	v_fmamk_f32 v151, v31, 0xbeb58ec6, v97
	v_fma_f32 v97, 0xbeb58ec6, v31, -v97
	;; [unrolled: 2-line block ×6, first 2 shown]
	v_fma_f32 v32, 0x3df6dbef, v34, -v101
	v_add_f32_e32 v19, v25, v23
	v_add_f32_e32 v22, v24, v26
	;; [unrolled: 1-line block ×6, first 2 shown]
	v_sub_f32_e32 v48, v14, v8
	v_sub_f32_e32 v49, v15, v9
	v_mul_f32_e32 v112, 0x3f29c268, v41
	v_mul_f32_e32 v113, 0x3eedf032, v41
	;; [unrolled: 1-line block ×12, first 2 shown]
	v_fmac_f32_e32 v101, 0x3df6dbef, v34
	v_fma_f32 v156, 0xbf788fa5, v34, -v102
	v_fmac_f32_e32 v102, 0xbf788fa5, v34
	v_fma_f32 v157, 0xbeb58ec6, v34, -v103
	;; [unrolled: 2-line block ×5, first 2 shown]
	v_fmac_f32_e32 v37, 0xbf3f9e67, v34
	v_fmamk_f32 v34, v35, 0x3df6dbef, v106
	v_fma_f32 v106, 0x3df6dbef, v35, -v106
	v_fmamk_f32 v161, v35, 0xbf788fa5, v107
	v_fma_f32 v107, 0xbf788fa5, v35, -v107
	v_fmamk_f32 v162, v35, 0xbeb58ec6, v108
	v_fma_f32 v108, 0xbeb58ec6, v35, -v108
	v_fmamk_f32 v163, v35, 0x3f62ad3f, v109
	v_fma_f32 v109, 0x3f62ad3f, v35, -v109
	v_fmamk_f32 v164, v35, 0x3f116cb1, v110
	v_fma_f32 v110, 0x3f116cb1, v35, -v110
	v_fmamk_f32 v165, v35, 0xbf3f9e67, v36
	v_fma_f32 v35, 0xbf3f9e67, v35, -v36
	v_fma_f32 v36, 0xbeb58ec6, v38, -v111
	v_add_f32_e32 v23, v25, v27
	v_add_f32_e32 v26, v24, v137
	;; [unrolled: 1-line block ×17, first 2 shown]
	v_mul_f32_e32 v122, 0x3f7e222b, v45
	v_mul_f32_e32 v123, 0xbf52af12, v45
	;; [unrolled: 1-line block ×12, first 2 shown]
	v_fmac_f32_e32 v111, 0xbeb58ec6, v38
	v_fma_f32 v166, 0xbf3f9e67, v38, -v112
	v_fmac_f32_e32 v112, 0xbf3f9e67, v38
	v_fma_f32 v167, 0x3f62ad3f, v38, -v113
	;; [unrolled: 2-line block ×5, first 2 shown]
	v_fmac_f32_e32 v41, 0x3f116cb1, v38
	v_fmamk_f32 v38, v39, 0xbeb58ec6, v116
	v_fma_f32 v116, 0xbeb58ec6, v39, -v116
	v_fmamk_f32 v171, v39, 0xbf3f9e67, v117
	v_fma_f32 v117, 0xbf3f9e67, v39, -v117
	;; [unrolled: 2-line block ×6, first 2 shown]
	v_fma_f32 v40, 0xbf3f9e67, v42, -v121
	v_add_f32_e32 v140, v25, v142
	v_add_f32_e32 v82, v24, v82
	;; [unrolled: 1-line block ×26, first 2 shown]
	v_mul_f32_e32 v132, 0xbe750f2a, v48
	v_fmac_f32_e32 v121, 0xbf3f9e67, v42
	v_fma_f32 v176, 0x3df6dbef, v42, -v122
	v_fmac_f32_e32 v122, 0x3df6dbef, v42
	v_fma_f32 v177, 0x3f116cb1, v42, -v123
	;; [unrolled: 2-line block ×5, first 2 shown]
	v_fmac_f32_e32 v45, 0xbeb58ec6, v42
	v_fmamk_f32 v42, v43, 0xbf3f9e67, v126
	v_fma_f32 v126, 0xbf3f9e67, v43, -v126
	v_fmamk_f32 v181, v43, 0x3df6dbef, v127
	v_fma_f32 v127, 0x3df6dbef, v43, -v127
	;; [unrolled: 2-line block ×6, first 2 shown]
	v_fma_f32 v44, 0xbf788fa5, v46, -v131
	v_add_f32_e32 v51, v153, v140
	v_add_f32_e32 v79, v94, v82
	;; [unrolled: 1-line block ×22, first 2 shown]
	v_mul_f32_e32 v133, 0x3eedf032, v49
	v_mul_f32_e32 v136, 0xbf29c268, v48
	v_fmamk_f32 v186, v47, 0xbf788fa5, v132
	v_fmac_f32_e32 v131, 0xbf788fa5, v46
	v_add_f32_e32 v83, v154, v142
	v_add_f32_e32 v85, v100, v85
	;; [unrolled: 1-line block ×25, first 2 shown]
	v_mul_f32_e32 v10, 0x3f52af12, v49
	v_mul_f32_e32 v134, 0x3eedf032, v48
	v_fma_f32 v132, 0xbf788fa5, v47, -v132
	v_fma_f32 v187, 0x3f62ad3f, v46, -v133
	v_add_f32_e32 v86, v150, v143
	v_add_f32_e32 v34, v164, v83
	;; [unrolled: 1-line block ×24, first 2 shown]
	v_fma_f32 v8, 0xbf3f9e67, v47, -v136
	v_fma_f32 v9, 0x3f116cb1, v46, -v10
	v_mul_f32_e32 v11, 0x3f52af12, v48
	v_mul_f32_e32 v12, 0xbf6f5d39, v49
	v_fmamk_f32 v188, v47, 0x3f62ad3f, v134
	v_add_f32_e32 v79, v160, v86
	v_add_f32_e32 v21, v37, v21
	;; [unrolled: 1-line block ×13, first 2 shown]
	v_fmamk_f32 v9, v47, 0x3f116cb1, v11
	v_fmac_f32_e32 v10, 0x3f116cb1, v46
	v_fma_f32 v11, 0x3f116cb1, v47, -v11
	v_fma_f32 v13, 0xbeb58ec6, v46, -v12
	v_mul_f32_e32 v14, 0xbf6f5d39, v48
	v_fmac_f32_e32 v133, 0x3f62ad3f, v46
	v_mul_f32_e32 v135, 0xbf29c268, v49
	v_add_f32_e32 v1, v7, v1
	v_add_f32_e32 v35, v170, v79
	;; [unrolled: 1-line block ×8, first 2 shown]
	v_fmamk_f32 v11, v47, 0xbeb58ec6, v14
	v_fmac_f32_e32 v12, 0xbeb58ec6, v46
	v_fma_f32 v13, 0xbeb58ec6, v47, -v14
	v_mul_f32_e32 v14, 0x3f7e222b, v49
	v_mul_f32_e32 v15, 0x3f7e222b, v48
	v_add_f32_e32 v34, v133, v16
	v_mul_u32_u24_e32 v16, 13, v89
	v_fma_f32 v189, 0xbf3f9e67, v46, -v135
	v_add_f32_e32 v1, v1, v3
	v_fmamk_f32 v3, v47, 0xbf3f9e67, v136
	v_add_f32_e32 v31, v184, v32
	v_add_f32_e32 v38, v180, v35
	;; [unrolled: 1-line block ×7, first 2 shown]
	v_fma_f32 v12, 0x3df6dbef, v46, -v14
	v_fmamk_f32 v13, v47, 0x3df6dbef, v15
	v_fmac_f32_e32 v14, 0x3df6dbef, v46
	v_fma_f32 v15, 0x3df6dbef, v47, -v15
	v_fma_f32 v134, 0x3f62ad3f, v47, -v134
	v_add_f32_e32 v0, v0, v2
	v_fmac_f32_e32 v135, 0xbf3f9e67, v46
	v_add_lshl_u32 v94, v93, v16, 3
	v_add_f32_e32 v2, v189, v18
	v_add_f32_e32 v3, v3, v19
	;; [unrolled: 1-line block ×9, first 2 shown]
	ds_write2_b64 v94, v[0:1], v[4:5] offset1:1
	ds_write2_b64 v94, v[6:7], v[2:3] offset0:2 offset1:3
	ds_write2_b64 v94, v[8:9], v[10:11] offset0:4 offset1:5
	;; [unrolled: 1-line block ×5, first 2 shown]
	ds_write_b64 v94, v[28:29] offset:96
	s_waitcnt lgkmcnt(0)
	s_barrier
	buffer_gl0_inv
	ds_read2_b64 v[48:51], v90 offset0:13 offset1:26
	ds_read2_b64 v[44:47], v90 offset0:39 offset1:52
	;; [unrolled: 1-line block ×3, first 2 shown]
	ds_read_b64 v[85:86], v91
	ds_read_b64 v[87:88], v90 offset:728
	v_or_b32_e32 v79, 8, v89
	v_add_co_u32 v83, s0, s12, v92
	v_add_co_ci_u32_e64 v84, null, s13, 0, s0
	v_cmp_gt_u64_e32 vcc_lo, 13, v[79:80]
                                        ; implicit-def: $vgpr38
	s_and_saveexec_b32 s0, vcc_lo
	s_cbranch_execz .LBB0_3
; %bb.2:
	ds_read2_b64 v[24:27], v90 offset0:8 offset1:21
	ds_read2_b64 v[32:35], v90 offset0:34 offset1:47
	;; [unrolled: 1-line block ×4, first 2 shown]
.LBB0_3:
	s_or_b32 exec_lo, exec_lo, s0
	v_mad_u64_u32 v[0:1], null, v89, 56, s[14:15]
	s_clause 0x3
	global_load_dwordx4 v[20:23], v[0:1], off
	global_load_dwordx4 v[16:19], v[0:1], off offset:16
	global_load_dwordx4 v[12:15], v[0:1], off offset:32
	global_load_dwordx2 v[81:82], v[0:1], off offset:48
	v_add_nc_u32_e32 v0, -5, v89
	v_cndmask_b32_e32 v0, v0, v79, vcc_lo
	v_mul_i32_i24_e32 v1, 56, v0
	v_mul_hi_i32_i24_e32 v0, 56, v0
	v_add_co_u32 v79, s0, s14, v1
	v_add_co_ci_u32_e64 v80, s0, s15, v0, s0
	s_clause 0x3
	global_load_dwordx4 v[4:7], v[79:80], off
	global_load_dwordx4 v[0:3], v[79:80], off offset:16
	global_load_dwordx4 v[8:11], v[79:80], off offset:32
	global_load_dwordx2 v[79:80], v[79:80], off offset:48
	s_waitcnt vmcnt(7) lgkmcnt(4)
	v_mul_f32_e32 v95, v49, v21
	v_mul_f32_e32 v96, v48, v21
	v_mul_f32_e32 v97, v51, v23
	v_mul_f32_e32 v98, v50, v23
	s_waitcnt vmcnt(6) lgkmcnt(3)
	v_mul_f32_e32 v99, v45, v17
	v_mul_f32_e32 v100, v44, v17
	v_mul_f32_e32 v101, v47, v19
	v_mul_f32_e32 v102, v46, v19
	;; [unrolled: 5-line block ×3, first 2 shown]
	s_waitcnt vmcnt(4) lgkmcnt(0)
	v_mul_f32_e32 v107, v88, v82
	v_mul_f32_e32 v108, v87, v82
	v_fma_f32 v48, v48, v20, -v95
	v_fmac_f32_e32 v96, v49, v20
	v_fma_f32 v49, v50, v22, -v97
	v_fmac_f32_e32 v98, v51, v22
	;; [unrolled: 2-line block ×7, first 2 shown]
	v_sub_f32_e32 v43, v85, v45
	v_sub_f32_e32 v45, v86, v102
	;; [unrolled: 1-line block ×8, first 2 shown]
	s_waitcnt vmcnt(3)
	v_mul_f32_e32 v51, v27, v5
	v_mul_f32_e32 v87, v26, v5
	v_mul_f32_e32 v88, v33, v7
	v_mul_f32_e32 v95, v32, v7
	s_waitcnt vmcnt(2)
	v_mul_f32_e32 v97, v35, v1
	v_mul_f32_e32 v99, v34, v1
	v_mul_f32_e32 v101, v29, v3
	v_mul_f32_e32 v102, v28, v3
	;; [unrolled: 5-line block ×3, first 2 shown]
	s_waitcnt vmcnt(0)
	v_mul_f32_e32 v107, v39, v80
	v_mul_f32_e32 v108, v38, v80
	v_fma_f32 v85, v85, 2.0, -v43
	v_fma_f32 v86, v86, 2.0, -v45
	;; [unrolled: 1-line block ×8, first 2 shown]
	v_add_f32_e32 v110, v45, v41
	v_fma_f32 v26, v26, v4, -v51
	v_fmac_f32_e32 v87, v27, v4
	v_fma_f32 v27, v32, v6, -v88
	v_fmac_f32_e32 v95, v33, v6
	;; [unrolled: 2-line block ×7, first 2 shown]
	v_sub_f32_e32 v109, v43, v46
	v_sub_f32_e32 v50, v40, v50
	v_add_f32_e32 v111, v47, v42
	v_sub_f32_e32 v34, v85, v49
	v_sub_f32_e32 v35, v86, v98
	v_fma_f32 v98, v45, 2.0, -v110
	v_sub_f32_e32 v32, v48, v44
	v_sub_f32_e32 v36, v96, v100
	;; [unrolled: 1-line block ×10, first 2 shown]
	v_fma_f32 v97, v43, 2.0, -v109
	v_fma_f32 v37, v40, 2.0, -v50
	;; [unrolled: 1-line block ×3, first 2 shown]
	v_add_f32_e32 v47, v35, v32
	v_fma_f32 v28, v24, 2.0, -v39
	v_fma_f32 v24, v27, 2.0, -v45
	;; [unrolled: 1-line block ×5, first 2 shown]
	v_sub_f32_e32 v31, v39, v49
	v_add_f32_e32 v33, v44, v45
	v_sub_f32_e32 v99, v88, v101
	v_add_f32_e32 v101, v100, v51
	v_fmamk_f32 v41, v111, 0x3f3504f3, v110
	v_fma_f32 v102, v85, 2.0, -v34
	v_fma_f32 v103, v86, 2.0, -v35
	;; [unrolled: 1-line block ×4, first 2 shown]
	v_fmamk_f32 v42, v37, 0xbf3504f3, v97
	v_fmamk_f32 v43, v38, 0xbf3504f3, v98
	v_sub_f32_e32 v46, v34, v36
	v_fma_f32 v30, v25, 2.0, -v44
	v_fma_f32 v25, v95, 2.0, -v49
	;; [unrolled: 1-line block ×8, first 2 shown]
	v_fmamk_f32 v40, v50, 0x3f3504f3, v109
	v_fmac_f32_e32 v41, 0x3f3504f3, v50
	v_sub_f32_e32 v48, v102, v48
	v_sub_f32_e32 v49, v103, v85
	v_fmac_f32_e32 v42, 0xbf3504f3, v38
	v_fmac_f32_e32 v43, 0x3f3504f3, v37
	v_fma_f32 v50, v34, 2.0, -v46
	v_sub_f32_e32 v34, v28, v24
	v_sub_f32_e32 v37, v30, v25
	v_sub_f32_e32 v38, v29, v26
	v_sub_f32_e32 v39, v32, v27
	v_fmamk_f32 v44, v99, 0x3f3504f3, v31
	v_fmamk_f32 v45, v101, 0x3f3504f3, v33
	;; [unrolled: 1-line block ×4, first 2 shown]
	v_fmac_f32_e32 v40, 0xbf3504f3, v111
	v_fma_f32 v87, v102, 2.0, -v48
	v_fma_f32 v88, v103, 2.0, -v49
	v_sub_f32_e32 v26, v34, v39
	v_add_f32_e32 v27, v37, v38
	v_fmac_f32_e32 v44, 0xbf3504f3, v101
	v_fmac_f32_e32 v45, 0x3f3504f3, v99
	;; [unrolled: 1-line block ×4, first 2 shown]
	v_fma_f32 v95, v97, 2.0, -v42
	v_fma_f32 v96, v98, 2.0, -v43
	;; [unrolled: 1-line block ×4, first 2 shown]
	ds_write_b64 v91, v[87:88]
	ds_write2_b64 v90, v[95:96], v[50:51] offset0:13 offset1:26
	ds_write2_b64 v90, v[85:86], v[48:49] offset0:39 offset1:52
	;; [unrolled: 1-line block ×3, first 2 shown]
	ds_write_b64 v90, v[40:41] offset:728
	s_and_saveexec_b32 s0, vcc_lo
	s_cbranch_execz .LBB0_5
; %bb.4:
	v_fma_f32 v40, v30, 2.0, -v37
	v_fma_f32 v30, v32, 2.0, -v39
	;; [unrolled: 1-line block ×6, first 2 shown]
	v_sub_f32_e32 v33, v40, v30
	v_fma_f32 v31, v37, 2.0, -v27
	v_sub_f32_e32 v32, v39, v32
	v_fma_f32 v30, v34, 2.0, -v26
	v_fma_f32 v36, v36, 2.0, -v25
	v_fma_f32 v35, v35, 2.0, -v24
	v_fma_f32 v38, v40, 2.0, -v33
	v_fma_f32 v37, v39, 2.0, -v32
	ds_write2_b64 v90, v[30:31], v[28:29] offset0:34 offset1:47
	ds_write2_b64 v90, v[37:38], v[35:36] offset0:8 offset1:21
	;; [unrolled: 1-line block ×4, first 2 shown]
.LBB0_5:
	s_or_b32 exec_lo, exec_lo, s0
	s_waitcnt lgkmcnt(0)
	s_barrier
	buffer_gl0_inv
	global_load_dwordx2 v[28:29], v[83:84], off offset:832
	s_add_u32 s0, s12, 0x340
	s_addc_u32 s1, s13, 0
	s_clause 0xb
	global_load_dwordx2 v[50:51], v92, s[0:1] offset:64
	global_load_dwordx2 v[83:84], v92, s[0:1] offset:128
	;; [unrolled: 1-line block ×12, first 2 shown]
	ds_read_b64 v[30:31], v91
	v_lshl_add_u32 v87, v93, 3, v92
	s_waitcnt vmcnt(12) lgkmcnt(0)
	v_mul_f32_e32 v32, v31, v29
	v_mul_f32_e32 v33, v30, v29
	v_fma_f32 v32, v30, v28, -v32
	v_fmac_f32_e32 v33, v31, v28
	ds_write_b64 v91, v[32:33]
	ds_read_b64 v[92:93], v87 offset:64
	ds_read2_b64 v[28:31], v90 offset0:16 offset1:24
	ds_read2_b64 v[32:35], v90 offset0:32 offset1:40
	;; [unrolled: 1-line block ×5, first 2 shown]
	ds_read_b64 v[113:114], v90 offset:768
	s_waitcnt vmcnt(11) lgkmcnt(6)
	v_mul_f32_e32 v88, v93, v51
	v_mul_f32_e32 v116, v92, v51
	s_waitcnt vmcnt(10) lgkmcnt(5)
	v_mul_f32_e32 v117, v29, v84
	v_mul_f32_e32 v51, v28, v84
	s_waitcnt vmcnt(9)
	v_mul_f32_e32 v118, v31, v86
	v_mul_f32_e32 v84, v30, v86
	s_waitcnt vmcnt(8) lgkmcnt(4)
	v_mul_f32_e32 v119, v33, v96
	v_mul_f32_e32 v86, v32, v96
	s_waitcnt vmcnt(7)
	;; [unrolled: 6-line block ×5, first 2 shown]
	v_mul_f32_e32 v126, v49, v110
	v_mul_f32_e32 v108, v48, v110
	s_waitcnt vmcnt(0) lgkmcnt(0)
	v_mul_f32_e32 v127, v114, v112
	v_mul_f32_e32 v110, v113, v112
	v_fma_f32 v115, v92, v50, -v88
	v_fmac_f32_e32 v116, v93, v50
	v_fma_f32 v50, v28, v83, -v117
	v_fmac_f32_e32 v51, v29, v83
	;; [unrolled: 2-line block ×12, first 2 shown]
	ds_write_b64 v87, v[115:116] offset:64
	ds_write2_b64 v90, v[50:51], v[83:84] offset0:16 offset1:24
	ds_write2_b64 v90, v[85:86], v[95:96] offset0:32 offset1:40
	;; [unrolled: 1-line block ×5, first 2 shown]
	ds_write_b64 v90, v[109:110] offset:768
	s_waitcnt lgkmcnt(0)
	s_barrier
	buffer_gl0_inv
	ds_read_b64 v[48:49], v91
	ds_read_b64 v[50:51], v87 offset:64
	ds_read_b64 v[46:47], v90 offset:768
	ds_read2_b64 v[83:86], v90 offset0:16 offset1:24
	ds_read2_b64 v[32:35], v90 offset0:80 offset1:88
	;; [unrolled: 1-line block ×5, first 2 shown]
	s_waitcnt lgkmcnt(0)
	s_barrier
	buffer_gl0_inv
	v_add_f32_e32 v88, v48, v50
	v_add_f32_e32 v92, v49, v51
	;; [unrolled: 1-line block ×5, first 2 shown]
	v_sub_f32_e32 v98, v83, v34
	v_sub_f32_e32 v99, v84, v35
	v_add_f32_e32 v83, v88, v83
	v_add_f32_e32 v84, v92, v84
	;; [unrolled: 1-line block ×4, first 2 shown]
	v_sub_f32_e32 v106, v40, v38
	v_add_f32_e32 v83, v83, v85
	v_add_f32_e32 v84, v84, v86
	v_sub_f32_e32 v107, v41, v39
	v_sub_f32_e32 v51, v51, v47
	v_add_f32_e32 v93, v46, v50
	v_add_f32_e32 v40, v83, v40
	;; [unrolled: 1-line block ×3, first 2 shown]
	v_sub_f32_e32 v50, v50, v46
	v_mul_f32_e32 v88, 0xbeedf032, v51
	v_mul_f32_e32 v92, 0x3f62ad3f, v95
	v_add_f32_e32 v40, v40, v42
	v_add_f32_e32 v41, v41, v43
	v_mul_f32_e32 v114, 0x3f116cb1, v95
	v_mul_f32_e32 v116, 0x3df6dbef, v95
	;; [unrolled: 1-line block ×3, first 2 shown]
	v_add_f32_e32 v40, v40, v28
	v_add_f32_e32 v41, v41, v29
	v_mul_f32_e32 v120, 0xbf3f9e67, v95
	v_add_f32_e32 v100, v32, v85
	v_add_f32_e32 v101, v33, v86
	;; [unrolled: 1-line block ×4, first 2 shown]
	v_sub_f32_e32 v102, v85, v32
	v_sub_f32_e32 v103, v86, v33
	v_add_f32_e32 v108, v36, v42
	v_add_f32_e32 v109, v37, v43
	v_sub_f32_e32 v110, v42, v36
	v_sub_f32_e32 v111, v43, v37
	v_mul_f32_e32 v113, 0xbf52af12, v51
	v_mul_f32_e32 v115, 0xbf7e222b, v51
	v_mul_f32_e32 v117, 0xbf6f5d39, v51
	v_mul_f32_e32 v119, 0xbf29c268, v51
	v_mul_f32_e32 v51, 0xbe750f2a, v51
	v_mul_f32_e32 v95, 0xbf788fa5, v95
	v_mul_f32_e32 v121, 0xbf52af12, v99
	v_mul_f32_e32 v122, 0x3f116cb1, v97
	v_mul_f32_e32 v124, 0xbeb58ec6, v97
	v_mul_f32_e32 v126, 0xbf788fa5, v97
	v_mul_f32_e32 v128, 0xbf3f9e67, v97
	v_mul_f32_e32 v130, 0x3df6dbef, v97
	v_fmamk_f32 v85, v93, 0x3f62ad3f, v88
	v_fmamk_f32 v86, v50, 0x3eedf032, v92
	v_fmac_f32_e32 v92, 0xbeedf032, v50
	v_fmamk_f32 v162, v50, 0x3f52af12, v114
	v_fmac_f32_e32 v114, 0xbf52af12, v50
	;; [unrolled: 2-line block ×5, first 2 shown]
	v_add_f32_e32 v36, v40, v36
	v_add_f32_e32 v37, v41, v37
	v_mul_f32_e32 v123, 0xbf6f5d39, v99
	v_mul_f32_e32 v125, 0xbe750f2a, v99
	;; [unrolled: 1-line block ×12, first 2 shown]
	v_fma_f32 v88, 0x3f62ad3f, v93, -v88
	v_fmamk_f32 v161, v93, 0x3f116cb1, v113
	v_fma_f32 v113, 0x3f116cb1, v93, -v113
	v_fmamk_f32 v163, v93, 0x3df6dbef, v115
	;; [unrolled: 2-line block ×5, first 2 shown]
	v_fmamk_f32 v170, v50, 0x3e750f2a, v95
	v_fma_f32 v51, 0xbf788fa5, v93, -v51
	v_fmac_f32_e32 v95, 0xbe750f2a, v50
	v_fmamk_f32 v50, v96, 0x3f116cb1, v121
	v_fmamk_f32 v93, v98, 0x3f52af12, v122
	v_fmac_f32_e32 v122, 0xbf52af12, v98
	v_fmamk_f32 v172, v98, 0x3f6f5d39, v124
	v_fmac_f32_e32 v124, 0xbf6f5d39, v98
	;; [unrolled: 2-line block ×5, first 2 shown]
	v_add_f32_e32 v83, v48, v85
	v_add_f32_e32 v84, v49, v86
	;; [unrolled: 1-line block ×13, first 2 shown]
	v_mul_f32_e32 v133, 0xbe750f2a, v103
	v_mul_f32_e32 v135, 0x3f6f5d39, v103
	;; [unrolled: 1-line block ×12, first 2 shown]
	v_fma_f32 v121, 0x3f116cb1, v96, -v121
	v_fmamk_f32 v171, v96, 0xbeb58ec6, v123
	v_fma_f32 v123, 0xbeb58ec6, v96, -v123
	v_fmamk_f32 v173, v96, 0xbf788fa5, v125
	;; [unrolled: 2-line block ×5, first 2 shown]
	v_fmamk_f32 v180, v98, 0xbeedf032, v97
	v_fma_f32 v96, 0x3f62ad3f, v96, -v99
	v_fmac_f32_e32 v97, 0x3eedf032, v98
	v_fmamk_f32 v98, v100, 0x3df6dbef, v131
	v_fmamk_f32 v99, v102, 0x3f7e222b, v132
	v_fmac_f32_e32 v132, 0xbf7e222b, v102
	v_fmamk_f32 v182, v102, 0x3e750f2a, v134
	v_fmac_f32_e32 v134, 0xbe750f2a, v102
	;; [unrolled: 2-line block ×5, first 2 shown]
	v_add_f32_e32 v85, v48, v88
	v_add_f32_e32 v88, v48, v161
	;; [unrolled: 1-line block ×26, first 2 shown]
	v_sub_f32_e32 v112, v29, v31
	v_mul_f32_e32 v143, 0x3f29c268, v107
	v_mul_f32_e32 v145, 0x3eedf032, v107
	;; [unrolled: 1-line block ×12, first 2 shown]
	v_fma_f32 v131, 0x3df6dbef, v100, -v131
	v_fmamk_f32 v181, v100, 0xbf788fa5, v133
	v_fma_f32 v133, 0xbf788fa5, v100, -v133
	v_fmamk_f32 v183, v100, 0xbeb58ec6, v135
	;; [unrolled: 2-line block ×5, first 2 shown]
	v_fmamk_f32 v190, v102, 0x3f29c268, v101
	v_fma_f32 v100, 0xbf3f9e67, v100, -v103
	v_fmac_f32_e32 v101, 0xbf29c268, v102
	v_fmamk_f32 v102, v104, 0xbeb58ec6, v141
	v_fmamk_f32 v103, v106, 0x3f6f5d39, v142
	v_fmac_f32_e32 v142, 0xbf6f5d39, v106
	v_fmamk_f32 v192, v106, 0xbf29c268, v144
	v_fmac_f32_e32 v144, 0x3f29c268, v106
	;; [unrolled: 2-line block ×5, first 2 shown]
	v_add_f32_e32 v122, v180, v168
	v_add_f32_e32 v48, v96, v48
	;; [unrolled: 1-line block ×16, first 2 shown]
	v_mul_f32_e32 v153, 0x3f7e222b, v111
	v_mul_f32_e32 v155, 0xbf52af12, v111
	v_mul_f32_e32 v157, 0x3e750f2a, v111
	v_mul_f32_e32 v159, 0x3eedf032, v111
	v_mul_f32_e32 v111, 0xbf6f5d39, v111
	v_mul_f32_e32 v109, 0xbeb58ec6, v109
	v_fma_f32 v141, 0xbeb58ec6, v104, -v141
	v_fmamk_f32 v191, v104, 0xbf3f9e67, v143
	v_fma_f32 v143, 0xbf3f9e67, v104, -v143
	v_fmamk_f32 v193, v104, 0x3f62ad3f, v145
	;; [unrolled: 2-line block ×5, first 2 shown]
	v_fmamk_f32 v200, v106, 0xbf52af12, v105
	v_fma_f32 v104, 0x3f116cb1, v104, -v107
	v_fmac_f32_e32 v105, 0x3f52af12, v106
	v_fmamk_f32 v106, v108, 0xbf3f9e67, v151
	v_fmamk_f32 v107, v110, 0x3f29c268, v152
	v_fmac_f32_e32 v152, 0xbf29c268, v110
	v_fmamk_f32 v202, v110, 0xbf7e222b, v154
	v_fmac_f32_e32 v154, 0x3f7e222b, v110
	;; [unrolled: 2-line block ×5, first 2 shown]
	v_add_f32_e32 v50, v121, v85
	v_add_f32_e32 v83, v171, v88
	;; [unrolled: 1-line block ×19, first 2 shown]
	v_mul_f32_e32 v35, 0xbe750f2a, v112
	v_add_f32_e32 v46, v31, v29
	v_add_f32_e32 v85, v123, v113
	;; [unrolled: 1-line block ×18, first 2 shown]
	v_fmamk_f32 v34, v110, 0x3f6f5d39, v109
	v_fma_f32 v29, 0xbeb58ec6, v108, -v111
	v_sub_f32_e32 v103, v28, v30
	v_fmamk_f32 v28, v47, 0xbf788fa5, v35
	v_mul_f32_e32 v31, 0xbf788fa5, v46
	v_fma_f32 v151, 0xbf3f9e67, v108, -v151
	v_fmamk_f32 v201, v108, 0x3df6dbef, v153
	v_add_f32_e32 v93, v125, v115
	v_add_f32_e32 v113, v175, v163
	;; [unrolled: 1-line block ×10, first 2 shown]
	v_fmamk_f32 v28, v103, 0x3e750f2a, v31
	v_mul_f32_e32 v29, 0x3eedf032, v112
	v_fma_f32 v153, 0x3df6dbef, v108, -v153
	v_fmamk_f32 v203, v108, 0x3f116cb1, v155
	v_add_f32_e32 v93, v135, v93
	v_add_f32_e32 v96, v185, v113
	;; [unrolled: 1-line block ×6, first 2 shown]
	v_fma_f32 v30, 0xbf788fa5, v47, -v35
	v_mul_f32_e32 v38, 0x3f62ad3f, v46
	v_add_f32_e32 v35, v28, v41
	v_fmamk_f32 v28, v47, 0x3f62ad3f, v29
	v_mul_f32_e32 v39, 0xbf29c268, v112
	v_fma_f32 v155, 0x3f116cb1, v108, -v155
	v_fmamk_f32 v205, v108, 0xbf788fa5, v157
	v_add_f32_e32 v115, v127, v117
	v_add_f32_e32 v117, v177, v165
	;; [unrolled: 1-line block ×7, first 2 shown]
	v_fmac_f32_e32 v109, 0xbf6f5d39, v110
	v_fmac_f32_e32 v31, 0xbe750f2a, v103
	v_fmamk_f32 v37, v103, 0xbeedf032, v38
	v_add_f32_e32 v36, v28, v50
	v_fma_f32 v28, 0x3f62ad3f, v47, -v29
	v_fmac_f32_e32 v38, 0x3eedf032, v103
	v_fmamk_f32 v29, v47, 0xbf3f9e67, v39
	v_mul_f32_e32 v40, 0xbf3f9e67, v46
	v_mul_f32_e32 v41, 0x3f52af12, v112
	v_add_f32_e32 v121, v179, v167
	v_add_f32_e32 v98, v137, v115
	;; [unrolled: 1-line block ×12, first 2 shown]
	v_fmamk_f32 v28, v103, 0x3f29c268, v40
	v_fma_f32 v29, 0xbf3f9e67, v47, -v39
	v_fmac_f32_e32 v40, 0xbf29c268, v103
	v_fmamk_f32 v42, v47, 0x3f116cb1, v41
	v_mul_f32_e32 v43, 0x3f116cb1, v46
	v_fma_f32 v157, 0xbf788fa5, v108, -v157
	v_fmamk_f32 v207, v108, 0x3f62ad3f, v159
	v_fma_f32 v159, 0x3f62ad3f, v108, -v159
	v_add_f32_e32 v117, v189, v121
	v_add_f32_e32 v98, v147, v98
	;; [unrolled: 1-line block ×8, first 2 shown]
	v_fmamk_f32 v42, v103, 0xbf52af12, v43
	v_mul_f32_e32 v83, 0xbf6f5d39, v112
	v_fmac_f32_e32 v43, 0x3f52af12, v103
	v_mul_f32_e32 v84, 0xbeb58ec6, v46
	v_fmamk_f32 v209, v108, 0xbeb58ec6, v111
	v_add_f32_e32 v113, v199, v117
	v_add_f32_e32 v96, v157, v98
	;; [unrolled: 1-line block ×4, first 2 shown]
	v_fma_f32 v50, 0x3f116cb1, v47, -v41
	v_add_f32_e32 v41, v42, v95
	v_fmamk_f32 v42, v47, 0xbeb58ec6, v83
	v_fma_f32 v83, 0xbeb58ec6, v47, -v83
	v_mul_f32_e32 v85, 0x3f7e222b, v112
	v_mul_f32_e32 v86, 0x3df6dbef, v46
	v_add_f32_e32 v37, v37, v51
	v_add_f32_e32 v51, v43, v97
	v_fmamk_f32 v43, v103, 0x3f6f5d39, v84
	v_add_f32_e32 v102, v209, v113
	v_add_f32_e32 v46, v83, v100
	v_fmac_f32_e32 v84, 0xbf6f5d39, v103
	v_fmamk_f32 v83, v47, 0x3df6dbef, v85
	v_fmamk_f32 v88, v103, 0xbf7e222b, v86
	v_fma_f32 v85, 0x3df6dbef, v47, -v85
	v_fmac_f32_e32 v86, 0x3f7e222b, v103
	v_add_f32_e32 v42, v42, v98
	v_add_f32_e32 v43, v43, v99
	;; [unrolled: 1-line block ×8, first 2 shown]
	ds_write2_b64 v94, v[32:33], v[34:35] offset1:1
	ds_write2_b64 v94, v[36:37], v[38:39] offset0:2 offset1:3
	ds_write2_b64 v94, v[40:41], v[42:43] offset0:4 offset1:5
	;; [unrolled: 1-line block ×5, first 2 shown]
	ds_write_b64 v94, v[30:31] offset:96
	s_waitcnt lgkmcnt(0)
	s_barrier
	buffer_gl0_inv
	ds_read2_b64 v[40:43], v90 offset0:13 offset1:26
	ds_read2_b64 v[36:39], v90 offset0:39 offset1:52
	;; [unrolled: 1-line block ×3, first 2 shown]
	ds_read_b64 v[83:84], v91
	ds_read_b64 v[85:86], v90 offset:728
	s_and_saveexec_b32 s0, vcc_lo
	s_cbranch_execz .LBB0_7
; %bb.6:
	ds_read2_b64 v[28:31], v90 offset0:47 offset1:60
	ds_read2_b64 v[92:95], v90 offset0:21 offset1:34
	;; [unrolled: 1-line block ×3, first 2 shown]
	ds_read_b64 v[46:47], v87 offset:64
	ds_read_b64 v[44:45], v90 offset:792
	s_waitcnt lgkmcnt(4)
	v_mov_b32_e32 v48, v28
	v_mov_b32_e32 v49, v29
	s_waitcnt lgkmcnt(3)
	v_mov_b32_e32 v28, v94
	v_mov_b32_e32 v29, v95
	;; [unrolled: 1-line block ×4, first 2 shown]
.LBB0_7:
	s_or_b32 exec_lo, exec_lo, s0
	s_waitcnt lgkmcnt(4)
	v_mul_f32_e32 v88, v21, v41
	v_mul_f32_e32 v21, v21, v40
	;; [unrolled: 1-line block ×4, first 2 shown]
	s_waitcnt lgkmcnt(3)
	v_mul_f32_e32 v93, v17, v37
	v_fmac_f32_e32 v88, v20, v40
	v_fma_f32 v20, v20, v41, -v21
	v_fmac_f32_e32 v92, v22, v42
	v_fma_f32 v21, v22, v43, -v23
	v_mul_f32_e32 v17, v17, v36
	v_mul_f32_e32 v22, v19, v39
	;; [unrolled: 1-line block ×3, first 2 shown]
	s_waitcnt lgkmcnt(2)
	v_mul_f32_e32 v23, v13, v33
	v_mul_f32_e32 v13, v13, v32
	v_fmac_f32_e32 v93, v16, v36
	v_fma_f32 v16, v16, v37, -v17
	v_fmac_f32_e32 v22, v18, v38
	v_fma_f32 v17, v18, v39, -v19
	v_fmac_f32_e32 v23, v12, v32
	v_mul_f32_e32 v18, v15, v35
	v_fma_f32 v12, v12, v33, -v13
	v_mul_f32_e32 v13, v15, v34
	s_waitcnt lgkmcnt(0)
	v_mul_f32_e32 v15, v82, v86
	v_mul_f32_e32 v19, v82, v85
	v_fmac_f32_e32 v18, v14, v34
	v_sub_f32_e32 v22, v83, v22
	v_fma_f32 v13, v14, v35, -v13
	v_sub_f32_e32 v17, v84, v17
	v_fmac_f32_e32 v15, v81, v85
	v_sub_f32_e32 v18, v92, v18
	v_fma_f32 v14, v81, v86, -v19
	v_sub_f32_e32 v13, v21, v13
	v_fma_f32 v19, v83, 2.0, -v22
	v_fma_f32 v32, v84, 2.0, -v17
	;; [unrolled: 1-line block ×3, first 2 shown]
	v_sub_f32_e32 v23, v88, v23
	v_fma_f32 v21, v21, 2.0, -v13
	v_sub_f32_e32 v12, v20, v12
	v_sub_f32_e32 v15, v93, v15
	;; [unrolled: 1-line block ×5, first 2 shown]
	v_fma_f32 v34, v88, 2.0, -v23
	v_fma_f32 v20, v20, 2.0, -v12
	;; [unrolled: 1-line block ×3, first 2 shown]
	v_add_f32_e32 v36, v22, v13
	v_fma_f32 v13, v16, 2.0, -v14
	v_fma_f32 v16, v19, 2.0, -v33
	;; [unrolled: 1-line block ×3, first 2 shown]
	v_add_f32_e32 v32, v23, v14
	v_sub_f32_e32 v37, v17, v18
	v_sub_f32_e32 v21, v34, v21
	;; [unrolled: 1-line block ×4, first 2 shown]
	v_fma_f32 v22, v22, 2.0, -v36
	v_fma_f32 v18, v23, 2.0, -v32
	;; [unrolled: 1-line block ×6, first 2 shown]
	v_fmamk_f32 v14, v18, 0xbf3504f3, v22
	v_sub_f32_e32 v23, v35, v21
	v_sub_f32_e32 v12, v16, v13
	;; [unrolled: 1-line block ×3, first 2 shown]
	v_fmamk_f32 v15, v17, 0xbf3504f3, v40
	v_fmac_f32_e32 v14, 0x3f3504f3, v17
	v_fma_f32 v16, v16, 2.0, -v12
	v_fma_f32 v17, v19, 2.0, -v13
	v_fmac_f32_e32 v15, 0xbf3504f3, v18
	v_fmamk_f32 v18, v32, 0x3f3504f3, v36
	v_fmamk_f32 v19, v39, 0x3f3504f3, v37
	v_fma_f32 v20, v22, 2.0, -v14
	v_add_f32_e32 v22, v33, v38
	v_fma_f32 v21, v40, 2.0, -v15
	v_fmac_f32_e32 v18, 0x3f3504f3, v39
	v_fmac_f32_e32 v19, 0xbf3504f3, v32
	v_fma_f32 v32, v33, 2.0, -v22
	v_fma_f32 v33, v35, 2.0, -v23
	;; [unrolled: 1-line block ×4, first 2 shown]
	ds_write_b64 v91, v[16:17]
	ds_write2_b64 v90, v[20:21], v[32:33] offset0:13 offset1:26
	ds_write2_b64 v90, v[34:35], v[12:13] offset0:39 offset1:52
	;; [unrolled: 1-line block ×3, first 2 shown]
	ds_write_b64 v90, v[18:19] offset:728
	s_and_saveexec_b32 s0, vcc_lo
	s_cbranch_execz .LBB0_9
; %bb.8:
	v_mul_f32_e32 v17, v1, v49
	v_mul_f32_e32 v1, v1, v48
	;; [unrolled: 1-line block ×8, first 2 shown]
	v_fmac_f32_e32 v17, v0, v48
	v_fma_f32 v22, v0, v49, -v1
	v_mul_f32_e32 v0, v5, v51
	v_mul_f32_e32 v1, v9, v25
	v_mul_f32_e32 v7, v7, v28
	v_mul_f32_e32 v9, v11, v26
	v_fma_f32 v12, v2, v31, -v12
	v_fmac_f32_e32 v13, v6, v28
	v_fmac_f32_e32 v14, v10, v26
	v_fma_f32 v15, v4, v51, -v15
	v_fma_f32 v16, v8, v25, -v16
	v_fmac_f32_e32 v18, v79, v44
	v_mul_f32_e32 v20, v80, v44
	v_fmac_f32_e32 v0, v4, v50
	v_fmac_f32_e32 v1, v8, v24
	v_mul_f32_e32 v3, v3, v31
	v_fma_f32 v4, v6, v29, -v7
	v_fma_f32 v6, v10, v27, -v9
	v_sub_f32_e32 v12, v47, v12
	v_sub_f32_e32 v14, v13, v14
	;; [unrolled: 1-line block ×4, first 2 shown]
	v_fma_f32 v5, v79, v45, -v20
	v_sub_f32_e32 v8, v0, v1
	v_fmac_f32_e32 v3, v2, v30
	v_sub_f32_e32 v2, v4, v6
	v_sub_f32_e32 v19, v12, v14
	;; [unrolled: 1-line block ×5, first 2 shown]
	v_fma_f32 v11, v47, 2.0, -v12
	v_fma_f32 v3, v4, 2.0, -v2
	;; [unrolled: 1-line block ×4, first 2 shown]
	v_fmamk_f32 v1, v21, 0x3f3504f3, v19
	v_add_f32_e32 v6, v7, v8
	v_sub_f32_e32 v17, v11, v3
	v_fma_f32 v20, v46, 2.0, -v10
	v_sub_f32_e32 v18, v4, v0
	v_fma_f32 v9, v13, 2.0, -v14
	v_fma_f32 v13, v15, 2.0, -v16
	;; [unrolled: 1-line block ×3, first 2 shown]
	v_fmac_f32_e32 v1, 0xbf3504f3, v6
	v_add_f32_e32 v2, v2, v10
	v_sub_f32_e32 v5, v17, v18
	v_fma_f32 v15, v16, 2.0, -v21
	v_sub_f32_e32 v16, v20, v9
	v_sub_f32_e32 v14, v13, v14
	v_fma_f32 v3, v19, 2.0, -v1
	v_fmamk_f32 v0, v6, 0x3f3504f3, v2
	v_fma_f32 v12, v12, 2.0, -v19
	v_fma_f32 v6, v8, 2.0, -v6
	;; [unrolled: 1-line block ×8, first 2 shown]
	v_fmamk_f32 v9, v15, 0xbf3504f3, v12
	v_fmamk_f32 v8, v6, 0xbf3504f3, v19
	v_sub_f32_e32 v11, v17, v10
	v_add_f32_e32 v4, v16, v14
	v_sub_f32_e32 v10, v20, v13
	v_fmac_f32_e32 v9, 0xbf3504f3, v6
	v_fmac_f32_e32 v8, 0x3f3504f3, v15
	;; [unrolled: 1-line block ×3, first 2 shown]
	v_fma_f32 v15, v17, 2.0, -v11
	v_fma_f32 v14, v20, 2.0, -v10
	v_fma_f32 v6, v16, 2.0, -v4
	v_fma_f32 v13, v12, 2.0, -v9
	v_fma_f32 v12, v19, 2.0, -v8
	v_fma_f32 v2, v2, 2.0, -v0
	ds_write_b64 v87, v[14:15] offset:64
	ds_write2_b64 v90, v[12:13], v[6:7] offset0:21 offset1:34
	ds_write2_b64 v90, v[2:3], v[10:11] offset0:47 offset1:60
	;; [unrolled: 1-line block ×3, first 2 shown]
	ds_write_b64 v90, v[0:1] offset:792
.LBB0_9:
	s_or_b32 exec_lo, exec_lo, s0
	s_waitcnt lgkmcnt(0)
	s_barrier
	buffer_gl0_inv
	ds_read_b64 v[8:9], v91
	ds_read_b64 v[10:11], v87 offset:64
	ds_read2_b64 v[0:3], v90 offset0:16 offset1:24
	ds_read2_b64 v[4:7], v90 offset0:32 offset1:40
	ds_read_b64 v[16:17], v90 offset:768
	v_mad_u64_u32 v[12:13], null, s10, v52, 0
	v_mad_u64_u32 v[14:15], null, s8, v89, 0
	s_mov_b32 s4, 0x13b13b14
	s_mov_b32 s5, 0x3f83b13b
	s_lshl_b64 s[0:1], s[8:9], 6
	v_mad_u64_u32 v[28:29], null, s11, v52, v[13:14]
	s_waitcnt lgkmcnt(4)
	v_mul_f32_e32 v18, v54, v9
	v_mul_f32_e32 v19, v54, v8
	s_waitcnt lgkmcnt(3)
	v_mul_f32_e32 v20, v58, v11
	v_mul_f32_e32 v21, v58, v10
	;; [unrolled: 3-line block ×3, first 2 shown]
	v_fmac_f32_e32 v18, v53, v8
	v_fma_f32 v8, v53, v9, -v19
	v_fmac_f32_e32 v20, v57, v10
	v_fma_f32 v9, v57, v11, -v21
	;; [unrolled: 2-line block ×3, first 2 shown]
	v_cvt_f64_f32_e32 v[0:1], v18
	v_cvt_f64_f32_e32 v[18:19], v8
	;; [unrolled: 1-line block ×6, first 2 shown]
	s_waitcnt lgkmcnt(0)
	v_mad_u64_u32 v[29:30], null, s9, v89, v[15:16]
	v_mul_f32_e32 v13, v56, v3
	v_mul_f32_e32 v15, v56, v2
	;; [unrolled: 1-line block ×3, first 2 shown]
	ds_read2_b64 v[8:11], v90 offset0:48 offset1:56
	v_mul_f32_e32 v33, v66, v4
	v_fmac_f32_e32 v13, v55, v2
	v_fma_f32 v15, v55, v3, -v15
	v_fmac_f32_e32 v32, v65, v4
	v_mul_f32_e32 v34, v74, v7
	v_mul_f32_e32 v35, v74, v6
	v_cvt_f64_f32_e32 v[2:3], v13
	v_cvt_f64_f32_e32 v[30:31], v15
	v_mov_b32_e32 v13, v28
	v_fma_f32 v28, v65, v5, -v33
	v_mul_f64 v[0:1], v[0:1], s[4:5]
	v_mul_f64 v[18:19], v[18:19], s[4:5]
	;; [unrolled: 1-line block ×6, first 2 shown]
	v_cvt_f64_f32_e32 v[4:5], v32
	v_mov_b32_e32 v15, v29
	v_fmac_f32_e32 v34, v73, v6
	v_fma_f32 v29, v73, v7, -v35
	v_lshlrev_b64 v[6:7], 3, v[12:13]
	s_waitcnt lgkmcnt(0)
	v_mul_f32_e32 v36, v64, v9
	v_mul_f32_e32 v37, v64, v8
	v_lshlrev_b64 v[12:13], 3, v[14:15]
	v_cvt_f64_f32_e32 v[14:15], v28
	v_mul_f32_e32 v28, v60, v11
	v_fmac_f32_e32 v36, v63, v8
	v_add_co_u32 v8, vcc_lo, s2, v6
	v_mul_f64 v[2:3], v[2:3], s[4:5]
	v_fmac_f32_e32 v28, v59, v10
	v_mul_f32_e32 v38, v78, v17
	v_cvt_f32_f64_e32 v0, v[0:1]
	v_cvt_f32_f64_e32 v1, v[18:19]
	;; [unrolled: 1-line block ×6, first 2 shown]
	v_add_co_ci_u32_e32 v22, vcc_lo, s3, v7, vcc_lo
	v_mul_f64 v[6:7], v[30:31], s[4:5]
	v_mul_f64 v[4:5], v[4:5], s[4:5]
	v_add_co_u32 v12, vcc_lo, v8, v12
	v_add_co_ci_u32_e32 v13, vcc_lo, v22, v13, vcc_lo
	v_mul_f64 v[14:15], v[14:15], s[4:5]
	v_add_co_u32 v22, vcc_lo, v12, s0
	v_add_co_ci_u32_e32 v23, vcc_lo, s1, v13, vcc_lo
	v_cvt_f64_f32_e32 v[26:27], v34
	v_add_co_u32 v24, vcc_lo, v22, s0
	v_add_co_ci_u32_e32 v25, vcc_lo, s1, v23, vcc_lo
	global_store_dwordx2 v[12:13], v[0:1], off
	v_fma_f32 v0, v63, v9, -v37
	global_store_dwordx2 v[22:23], v[18:19], off
	global_store_dwordx2 v[24:25], v[20:21], off
	v_add_co_u32 v22, vcc_lo, v24, s0
	v_cvt_f32_f64_e32 v20, v[2:3]
	v_cvt_f32_f64_e32 v21, v[6:7]
	;; [unrolled: 1-line block ×3, first 2 shown]
	ds_read2_b64 v[4:7], v90 offset0:80 offset1:88
	v_cvt_f64_f32_e32 v[18:19], v0
	ds_read2_b64 v[0:3], v90 offset0:64 offset1:72
	v_cvt_f64_f32_e32 v[8:9], v29
	v_cvt_f64_f32_e32 v[12:13], v36
	v_mul_f32_e32 v29, v60, v10
	v_mul_f32_e32 v39, v78, v16
	v_add_co_ci_u32_e32 v23, vcc_lo, s1, v25, vcc_lo
	v_cvt_f32_f64_e32 v25, v[14:15]
	v_fma_f32 v29, v59, v11, -v29
	v_fmac_f32_e32 v38, v77, v16
	v_fma_f32 v39, v77, v17, -v39
	v_mul_f64 v[26:27], v[26:27], s[4:5]
	v_add_co_u32 v14, vcc_lo, v22, s0
	v_add_co_ci_u32_e32 v15, vcc_lo, s1, v23, vcc_lo
	global_store_dwordx2 v[22:23], v[20:21], off
	global_store_dwordx2 v[14:15], v[24:25], off
	s_waitcnt lgkmcnt(1)
	v_mul_f32_e32 v34, v70, v5
	s_waitcnt lgkmcnt(0)
	v_mul_f32_e32 v30, v62, v1
	v_mul_f32_e32 v31, v62, v0
	;; [unrolled: 1-line block ×4, first 2 shown]
	v_fmac_f32_e32 v34, v69, v4
	v_mul_f32_e32 v4, v70, v4
	v_mul_f32_e32 v36, v76, v7
	;; [unrolled: 1-line block ×3, first 2 shown]
	v_mul_f64 v[8:9], v[8:9], s[4:5]
	v_mul_f64 v[10:11], v[12:13], s[4:5]
	;; [unrolled: 1-line block ×3, first 2 shown]
	v_cvt_f64_f32_e32 v[18:19], v28
	v_cvt_f64_f32_e32 v[28:29], v29
	v_fmac_f32_e32 v30, v61, v0
	v_fma_f32 v31, v61, v1, -v31
	v_fmac_f32_e32 v32, v71, v2
	v_fma_f32 v33, v71, v3, -v33
	v_fma_f32 v4, v69, v5, -v4
	v_fmac_f32_e32 v36, v75, v6
	v_fma_f32 v37, v75, v7, -v37
	v_cvt_f64_f32_e32 v[0:1], v30
	v_cvt_f64_f32_e32 v[2:3], v31
	;; [unrolled: 1-line block ×10, first 2 shown]
	v_cvt_f32_f64_e32 v21, v[8:9]
	v_cvt_f32_f64_e32 v10, v[10:11]
	;; [unrolled: 1-line block ×3, first 2 shown]
	v_mul_f64 v[8:9], v[18:19], s[4:5]
	v_mul_f64 v[18:19], v[28:29], s[4:5]
	v_cvt_f32_f64_e32 v20, v[26:27]
	v_add_co_u32 v14, vcc_lo, v14, s0
	v_add_co_ci_u32_e32 v15, vcc_lo, s1, v15, vcc_lo
	v_mul_f64 v[0:1], v[0:1], s[4:5]
	v_mul_f64 v[2:3], v[2:3], s[4:5]
	;; [unrolled: 1-line block ×10, first 2 shown]
	v_add_co_u32 v30, vcc_lo, v14, s0
	v_add_co_ci_u32_e32 v31, vcc_lo, s1, v15, vcc_lo
	v_cvt_f32_f64_e32 v8, v[8:9]
	v_cvt_f32_f64_e32 v9, v[18:19]
	v_add_co_u32 v18, vcc_lo, v30, s0
	v_add_co_ci_u32_e32 v19, vcc_lo, s1, v31, vcc_lo
	global_store_dwordx2 v[14:15], v[20:21], off
	global_store_dwordx2 v[30:31], v[10:11], off
	v_cvt_f32_f64_e32 v0, v[0:1]
	v_cvt_f32_f64_e32 v1, v[2:3]
	v_add_co_u32 v2, vcc_lo, v18, s0
	v_add_co_ci_u32_e32 v3, vcc_lo, s1, v19, vcc_lo
	v_cvt_f32_f64_e32 v12, v[12:13]
	v_cvt_f32_f64_e32 v13, v[22:23]
	;; [unrolled: 1-line block ×8, first 2 shown]
	v_add_co_u32 v16, vcc_lo, v2, s0
	v_add_co_ci_u32_e32 v17, vcc_lo, s1, v3, vcc_lo
	global_store_dwordx2 v[18:19], v[8:9], off
	v_add_co_u32 v14, vcc_lo, v16, s0
	v_add_co_ci_u32_e32 v15, vcc_lo, s1, v17, vcc_lo
	v_add_co_u32 v10, vcc_lo, v14, s0
	v_add_co_ci_u32_e32 v11, vcc_lo, s1, v15, vcc_lo
	;; [unrolled: 2-line block ×3, first 2 shown]
	global_store_dwordx2 v[2:3], v[0:1], off
	global_store_dwordx2 v[16:17], v[12:13], off
	;; [unrolled: 1-line block ×5, first 2 shown]
.LBB0_10:
	s_endpgm
	.section	.rodata,"a",@progbits
	.p2align	6, 0x0
	.amdhsa_kernel bluestein_single_back_len104_dim1_sp_op_CI_CI
		.amdhsa_group_segment_fixed_size 6656
		.amdhsa_private_segment_fixed_size 0
		.amdhsa_kernarg_size 104
		.amdhsa_user_sgpr_count 6
		.amdhsa_user_sgpr_private_segment_buffer 1
		.amdhsa_user_sgpr_dispatch_ptr 0
		.amdhsa_user_sgpr_queue_ptr 0
		.amdhsa_user_sgpr_kernarg_segment_ptr 1
		.amdhsa_user_sgpr_dispatch_id 0
		.amdhsa_user_sgpr_flat_scratch_init 0
		.amdhsa_user_sgpr_private_segment_size 0
		.amdhsa_wavefront_size32 1
		.amdhsa_uses_dynamic_stack 0
		.amdhsa_system_sgpr_private_segment_wavefront_offset 0
		.amdhsa_system_sgpr_workgroup_id_x 1
		.amdhsa_system_sgpr_workgroup_id_y 0
		.amdhsa_system_sgpr_workgroup_id_z 0
		.amdhsa_system_sgpr_workgroup_info 0
		.amdhsa_system_vgpr_workitem_id 0
		.amdhsa_next_free_vgpr 210
		.amdhsa_next_free_sgpr 20
		.amdhsa_reserve_vcc 1
		.amdhsa_reserve_flat_scratch 0
		.amdhsa_float_round_mode_32 0
		.amdhsa_float_round_mode_16_64 0
		.amdhsa_float_denorm_mode_32 3
		.amdhsa_float_denorm_mode_16_64 3
		.amdhsa_dx10_clamp 1
		.amdhsa_ieee_mode 1
		.amdhsa_fp16_overflow 0
		.amdhsa_workgroup_processor_mode 1
		.amdhsa_memory_ordered 1
		.amdhsa_forward_progress 0
		.amdhsa_shared_vgpr_count 0
		.amdhsa_exception_fp_ieee_invalid_op 0
		.amdhsa_exception_fp_denorm_src 0
		.amdhsa_exception_fp_ieee_div_zero 0
		.amdhsa_exception_fp_ieee_overflow 0
		.amdhsa_exception_fp_ieee_underflow 0
		.amdhsa_exception_fp_ieee_inexact 0
		.amdhsa_exception_int_div_zero 0
	.end_amdhsa_kernel
	.text
.Lfunc_end0:
	.size	bluestein_single_back_len104_dim1_sp_op_CI_CI, .Lfunc_end0-bluestein_single_back_len104_dim1_sp_op_CI_CI
                                        ; -- End function
	.section	.AMDGPU.csdata,"",@progbits
; Kernel info:
; codeLenInByte = 10912
; NumSgprs: 22
; NumVgprs: 210
; ScratchSize: 0
; MemoryBound: 0
; FloatMode: 240
; IeeeMode: 1
; LDSByteSize: 6656 bytes/workgroup (compile time only)
; SGPRBlocks: 2
; VGPRBlocks: 26
; NumSGPRsForWavesPerEU: 22
; NumVGPRsForWavesPerEU: 210
; Occupancy: 4
; WaveLimiterHint : 1
; COMPUTE_PGM_RSRC2:SCRATCH_EN: 0
; COMPUTE_PGM_RSRC2:USER_SGPR: 6
; COMPUTE_PGM_RSRC2:TRAP_HANDLER: 0
; COMPUTE_PGM_RSRC2:TGID_X_EN: 1
; COMPUTE_PGM_RSRC2:TGID_Y_EN: 0
; COMPUTE_PGM_RSRC2:TGID_Z_EN: 0
; COMPUTE_PGM_RSRC2:TIDIG_COMP_CNT: 0
	.text
	.p2alignl 6, 3214868480
	.fill 48, 4, 3214868480
	.type	__hip_cuid_34f9d5a6ff7cc12a,@object ; @__hip_cuid_34f9d5a6ff7cc12a
	.section	.bss,"aw",@nobits
	.globl	__hip_cuid_34f9d5a6ff7cc12a
__hip_cuid_34f9d5a6ff7cc12a:
	.byte	0                               ; 0x0
	.size	__hip_cuid_34f9d5a6ff7cc12a, 1

	.ident	"AMD clang version 19.0.0git (https://github.com/RadeonOpenCompute/llvm-project roc-6.4.0 25133 c7fe45cf4b819c5991fe208aaa96edf142730f1d)"
	.section	".note.GNU-stack","",@progbits
	.addrsig
	.addrsig_sym __hip_cuid_34f9d5a6ff7cc12a
	.amdgpu_metadata
---
amdhsa.kernels:
  - .args:
      - .actual_access:  read_only
        .address_space:  global
        .offset:         0
        .size:           8
        .value_kind:     global_buffer
      - .actual_access:  read_only
        .address_space:  global
        .offset:         8
        .size:           8
        .value_kind:     global_buffer
      - .actual_access:  read_only
        .address_space:  global
        .offset:         16
        .size:           8
        .value_kind:     global_buffer
      - .actual_access:  read_only
        .address_space:  global
        .offset:         24
        .size:           8
        .value_kind:     global_buffer
      - .actual_access:  read_only
        .address_space:  global
        .offset:         32
        .size:           8
        .value_kind:     global_buffer
      - .offset:         40
        .size:           8
        .value_kind:     by_value
      - .address_space:  global
        .offset:         48
        .size:           8
        .value_kind:     global_buffer
      - .address_space:  global
        .offset:         56
        .size:           8
        .value_kind:     global_buffer
      - .address_space:  global
        .offset:         64
        .size:           8
        .value_kind:     global_buffer
      - .address_space:  global
        .offset:         72
        .size:           8
        .value_kind:     global_buffer
      - .offset:         80
        .size:           4
        .value_kind:     by_value
      - .address_space:  global
        .offset:         88
        .size:           8
        .value_kind:     global_buffer
      - .address_space:  global
        .offset:         96
        .size:           8
        .value_kind:     global_buffer
    .group_segment_fixed_size: 6656
    .kernarg_segment_align: 8
    .kernarg_segment_size: 104
    .language:       OpenCL C
    .language_version:
      - 2
      - 0
    .max_flat_workgroup_size: 64
    .name:           bluestein_single_back_len104_dim1_sp_op_CI_CI
    .private_segment_fixed_size: 0
    .sgpr_count:     22
    .sgpr_spill_count: 0
    .symbol:         bluestein_single_back_len104_dim1_sp_op_CI_CI.kd
    .uniform_work_group_size: 1
    .uses_dynamic_stack: false
    .vgpr_count:     210
    .vgpr_spill_count: 0
    .wavefront_size: 32
    .workgroup_processor_mode: 1
amdhsa.target:   amdgcn-amd-amdhsa--gfx1030
amdhsa.version:
  - 1
  - 2
...

	.end_amdgpu_metadata
